;; amdgpu-corpus repo=ROCm/rocFFT kind=compiled arch=gfx1030 opt=O3
	.text
	.amdgcn_target "amdgcn-amd-amdhsa--gfx1030"
	.amdhsa_code_object_version 6
	.protected	fft_rtc_fwd_len1404_factors_2_2_3_13_3_3_wgs_117_tpt_117_halfLds_dp_ip_CI_unitstride_sbrr_dirReg ; -- Begin function fft_rtc_fwd_len1404_factors_2_2_3_13_3_3_wgs_117_tpt_117_halfLds_dp_ip_CI_unitstride_sbrr_dirReg
	.globl	fft_rtc_fwd_len1404_factors_2_2_3_13_3_3_wgs_117_tpt_117_halfLds_dp_ip_CI_unitstride_sbrr_dirReg
	.p2align	8
	.type	fft_rtc_fwd_len1404_factors_2_2_3_13_3_3_wgs_117_tpt_117_halfLds_dp_ip_CI_unitstride_sbrr_dirReg,@function
fft_rtc_fwd_len1404_factors_2_2_3_13_3_3_wgs_117_tpt_117_halfLds_dp_ip_CI_unitstride_sbrr_dirReg: ; @fft_rtc_fwd_len1404_factors_2_2_3_13_3_3_wgs_117_tpt_117_halfLds_dp_ip_CI_unitstride_sbrr_dirReg
; %bb.0:
	s_clause 0x2
	s_load_dwordx4 s[8:11], s[4:5], 0x0
	s_load_dwordx2 s[2:3], s[4:5], 0x50
	s_load_dwordx2 s[12:13], s[4:5], 0x18
	v_mul_u32_u24_e32 v1, 0x231, v0
	v_mov_b32_e32 v3, 0
	v_add_nc_u32_sdwa v5, s6, v1 dst_sel:DWORD dst_unused:UNUSED_PAD src0_sel:DWORD src1_sel:WORD_1
	v_mov_b32_e32 v1, 0
	v_mov_b32_e32 v6, v3
	v_mov_b32_e32 v2, 0
	s_waitcnt lgkmcnt(0)
	v_cmp_lt_u64_e64 s0, s[10:11], 2
	s_and_b32 vcc_lo, exec_lo, s0
	s_cbranch_vccnz .LBB0_8
; %bb.1:
	s_load_dwordx2 s[0:1], s[4:5], 0x10
	v_mov_b32_e32 v1, 0
	s_add_u32 s6, s12, 8
	v_mov_b32_e32 v2, 0
	s_addc_u32 s7, s13, 0
	s_mov_b64 s[16:17], 1
	s_waitcnt lgkmcnt(0)
	s_add_u32 s14, s0, 8
	s_addc_u32 s15, s1, 0
.LBB0_2:                                ; =>This Inner Loop Header: Depth=1
	s_load_dwordx2 s[18:19], s[14:15], 0x0
                                        ; implicit-def: $vgpr7_vgpr8
	s_mov_b32 s0, exec_lo
	s_waitcnt lgkmcnt(0)
	v_or_b32_e32 v4, s19, v6
	v_cmpx_ne_u64_e32 0, v[3:4]
	s_xor_b32 s1, exec_lo, s0
	s_cbranch_execz .LBB0_4
; %bb.3:                                ;   in Loop: Header=BB0_2 Depth=1
	v_cvt_f32_u32_e32 v4, s18
	v_cvt_f32_u32_e32 v7, s19
	s_sub_u32 s0, 0, s18
	s_subb_u32 s20, 0, s19
	v_fmac_f32_e32 v4, 0x4f800000, v7
	v_rcp_f32_e32 v4, v4
	v_mul_f32_e32 v4, 0x5f7ffffc, v4
	v_mul_f32_e32 v7, 0x2f800000, v4
	v_trunc_f32_e32 v7, v7
	v_fmac_f32_e32 v4, 0xcf800000, v7
	v_cvt_u32_f32_e32 v7, v7
	v_cvt_u32_f32_e32 v4, v4
	v_mul_lo_u32 v8, s0, v7
	v_mul_hi_u32 v9, s0, v4
	v_mul_lo_u32 v10, s20, v4
	v_add_nc_u32_e32 v8, v9, v8
	v_mul_lo_u32 v9, s0, v4
	v_add_nc_u32_e32 v8, v8, v10
	v_mul_hi_u32 v10, v4, v9
	v_mul_lo_u32 v11, v4, v8
	v_mul_hi_u32 v12, v4, v8
	v_mul_hi_u32 v13, v7, v9
	v_mul_lo_u32 v9, v7, v9
	v_mul_hi_u32 v14, v7, v8
	v_mul_lo_u32 v8, v7, v8
	v_add_co_u32 v10, vcc_lo, v10, v11
	v_add_co_ci_u32_e32 v11, vcc_lo, 0, v12, vcc_lo
	v_add_co_u32 v9, vcc_lo, v10, v9
	v_add_co_ci_u32_e32 v9, vcc_lo, v11, v13, vcc_lo
	v_add_co_ci_u32_e32 v10, vcc_lo, 0, v14, vcc_lo
	v_add_co_u32 v8, vcc_lo, v9, v8
	v_add_co_ci_u32_e32 v9, vcc_lo, 0, v10, vcc_lo
	v_add_co_u32 v4, vcc_lo, v4, v8
	v_add_co_ci_u32_e32 v7, vcc_lo, v7, v9, vcc_lo
	v_mul_hi_u32 v8, s0, v4
	v_mul_lo_u32 v10, s20, v4
	v_mul_lo_u32 v9, s0, v7
	v_add_nc_u32_e32 v8, v8, v9
	v_mul_lo_u32 v9, s0, v4
	v_add_nc_u32_e32 v8, v8, v10
	v_mul_hi_u32 v10, v4, v9
	v_mul_lo_u32 v11, v4, v8
	v_mul_hi_u32 v12, v4, v8
	v_mul_hi_u32 v13, v7, v9
	v_mul_lo_u32 v9, v7, v9
	v_mul_hi_u32 v14, v7, v8
	v_mul_lo_u32 v8, v7, v8
	v_add_co_u32 v10, vcc_lo, v10, v11
	v_add_co_ci_u32_e32 v11, vcc_lo, 0, v12, vcc_lo
	v_add_co_u32 v9, vcc_lo, v10, v9
	v_add_co_ci_u32_e32 v9, vcc_lo, v11, v13, vcc_lo
	v_add_co_ci_u32_e32 v10, vcc_lo, 0, v14, vcc_lo
	v_add_co_u32 v8, vcc_lo, v9, v8
	v_add_co_ci_u32_e32 v9, vcc_lo, 0, v10, vcc_lo
	v_add_co_u32 v4, vcc_lo, v4, v8
	v_add_co_ci_u32_e32 v11, vcc_lo, v7, v9, vcc_lo
	v_mul_hi_u32 v13, v5, v4
	v_mad_u64_u32 v[9:10], null, v6, v4, 0
	v_mad_u64_u32 v[7:8], null, v5, v11, 0
	;; [unrolled: 1-line block ×3, first 2 shown]
	v_add_co_u32 v4, vcc_lo, v13, v7
	v_add_co_ci_u32_e32 v7, vcc_lo, 0, v8, vcc_lo
	v_add_co_u32 v4, vcc_lo, v4, v9
	v_add_co_ci_u32_e32 v4, vcc_lo, v7, v10, vcc_lo
	v_add_co_ci_u32_e32 v7, vcc_lo, 0, v12, vcc_lo
	v_add_co_u32 v4, vcc_lo, v4, v11
	v_add_co_ci_u32_e32 v9, vcc_lo, 0, v7, vcc_lo
	v_mul_lo_u32 v10, s19, v4
	v_mad_u64_u32 v[7:8], null, s18, v4, 0
	v_mul_lo_u32 v11, s18, v9
	v_sub_co_u32 v7, vcc_lo, v5, v7
	v_add3_u32 v8, v8, v11, v10
	v_sub_nc_u32_e32 v10, v6, v8
	v_subrev_co_ci_u32_e64 v10, s0, s19, v10, vcc_lo
	v_add_co_u32 v11, s0, v4, 2
	v_add_co_ci_u32_e64 v12, s0, 0, v9, s0
	v_sub_co_u32 v13, s0, v7, s18
	v_sub_co_ci_u32_e32 v8, vcc_lo, v6, v8, vcc_lo
	v_subrev_co_ci_u32_e64 v10, s0, 0, v10, s0
	v_cmp_le_u32_e32 vcc_lo, s18, v13
	v_cmp_eq_u32_e64 s0, s19, v8
	v_cndmask_b32_e64 v13, 0, -1, vcc_lo
	v_cmp_le_u32_e32 vcc_lo, s19, v10
	v_cndmask_b32_e64 v14, 0, -1, vcc_lo
	v_cmp_le_u32_e32 vcc_lo, s18, v7
	;; [unrolled: 2-line block ×3, first 2 shown]
	v_cndmask_b32_e64 v15, 0, -1, vcc_lo
	v_cmp_eq_u32_e32 vcc_lo, s19, v10
	v_cndmask_b32_e64 v7, v15, v7, s0
	v_cndmask_b32_e32 v10, v14, v13, vcc_lo
	v_add_co_u32 v13, vcc_lo, v4, 1
	v_add_co_ci_u32_e32 v14, vcc_lo, 0, v9, vcc_lo
	v_cmp_ne_u32_e32 vcc_lo, 0, v10
	v_cndmask_b32_e32 v8, v14, v12, vcc_lo
	v_cndmask_b32_e32 v10, v13, v11, vcc_lo
	v_cmp_ne_u32_e32 vcc_lo, 0, v7
	v_cndmask_b32_e32 v8, v9, v8, vcc_lo
	v_cndmask_b32_e32 v7, v4, v10, vcc_lo
.LBB0_4:                                ;   in Loop: Header=BB0_2 Depth=1
	s_andn2_saveexec_b32 s0, s1
	s_cbranch_execz .LBB0_6
; %bb.5:                                ;   in Loop: Header=BB0_2 Depth=1
	v_cvt_f32_u32_e32 v4, s18
	s_sub_i32 s1, 0, s18
	v_rcp_iflag_f32_e32 v4, v4
	v_mul_f32_e32 v4, 0x4f7ffffe, v4
	v_cvt_u32_f32_e32 v4, v4
	v_mul_lo_u32 v7, s1, v4
	v_mul_hi_u32 v7, v4, v7
	v_add_nc_u32_e32 v4, v4, v7
	v_mul_hi_u32 v4, v5, v4
	v_mul_lo_u32 v7, v4, s18
	v_add_nc_u32_e32 v8, 1, v4
	v_sub_nc_u32_e32 v7, v5, v7
	v_subrev_nc_u32_e32 v9, s18, v7
	v_cmp_le_u32_e32 vcc_lo, s18, v7
	v_cndmask_b32_e32 v7, v7, v9, vcc_lo
	v_cndmask_b32_e32 v4, v4, v8, vcc_lo
	v_cmp_le_u32_e32 vcc_lo, s18, v7
	v_add_nc_u32_e32 v8, 1, v4
	v_cndmask_b32_e32 v7, v4, v8, vcc_lo
	v_mov_b32_e32 v8, v3
.LBB0_6:                                ;   in Loop: Header=BB0_2 Depth=1
	s_or_b32 exec_lo, exec_lo, s0
	s_load_dwordx2 s[0:1], s[6:7], 0x0
	v_mul_lo_u32 v4, v8, s18
	v_mul_lo_u32 v11, v7, s19
	v_mad_u64_u32 v[9:10], null, v7, s18, 0
	s_add_u32 s16, s16, 1
	s_addc_u32 s17, s17, 0
	s_add_u32 s6, s6, 8
	s_addc_u32 s7, s7, 0
	;; [unrolled: 2-line block ×3, first 2 shown]
	v_add3_u32 v4, v10, v11, v4
	v_sub_co_u32 v5, vcc_lo, v5, v9
	v_sub_co_ci_u32_e32 v4, vcc_lo, v6, v4, vcc_lo
	s_waitcnt lgkmcnt(0)
	v_mul_lo_u32 v6, s1, v5
	v_mul_lo_u32 v4, s0, v4
	v_mad_u64_u32 v[1:2], null, s0, v5, v[1:2]
	v_cmp_ge_u64_e64 s0, s[16:17], s[10:11]
	s_and_b32 vcc_lo, exec_lo, s0
	v_add3_u32 v2, v6, v2, v4
	s_cbranch_vccnz .LBB0_9
; %bb.7:                                ;   in Loop: Header=BB0_2 Depth=1
	v_mov_b32_e32 v5, v7
	v_mov_b32_e32 v6, v8
	s_branch .LBB0_2
.LBB0_8:
	v_mov_b32_e32 v8, v6
	v_mov_b32_e32 v7, v5
.LBB0_9:
	s_lshl_b64 s[0:1], s[10:11], 3
	v_mul_hi_u32 v5, 0x2302303, v0
	s_add_u32 s0, s12, s0
	s_addc_u32 s1, s13, s1
                                        ; implicit-def: $vgpr38_vgpr39
                                        ; implicit-def: $vgpr22_vgpr23
                                        ; implicit-def: $vgpr42_vgpr43
                                        ; implicit-def: $vgpr30_vgpr31
                                        ; implicit-def: $vgpr46_vgpr47
                                        ; implicit-def: $vgpr34_vgpr35
                                        ; implicit-def: $vgpr14_vgpr15
                                        ; implicit-def: $vgpr18_vgpr19
                                        ; implicit-def: $vgpr26_vgpr27
                                        ; implicit-def: $vgpr10_vgpr11
	s_load_dwordx2 s[0:1], s[0:1], 0x0
	s_load_dwordx2 s[4:5], s[4:5], 0x20
	s_waitcnt lgkmcnt(0)
	v_mul_lo_u32 v3, s0, v8
	v_mul_lo_u32 v4, s1, v7
	v_mad_u64_u32 v[1:2], null, s0, v7, v[1:2]
	v_cmp_gt_u64_e32 vcc_lo, s[4:5], v[7:8]
                                        ; implicit-def: $vgpr6_vgpr7
	v_add3_u32 v2, v4, v2, v3
	v_mul_u32_u24_e32 v3, 0x75, v5
	v_lshlrev_b64 v[48:49], 4, v[1:2]
	v_sub_nc_u32_e32 v50, v0, v3
                                        ; implicit-def: $vgpr2_vgpr3
	s_and_saveexec_b32 s1, vcc_lo
	s_cbranch_execz .LBB0_11
; %bb.10:
	v_mov_b32_e32 v51, 0
	v_add_co_u32 v2, s0, s2, v48
	v_add_co_ci_u32_e64 v3, s0, s3, v49, s0
	v_lshlrev_b64 v[0:1], 4, v[50:51]
	v_add_co_u32 v20, s0, v2, v0
	v_add_co_ci_u32_e64 v21, s0, v3, v1, s0
	v_add_co_u32 v0, s0, 0x2800, v20
	v_add_co_ci_u32_e64 v1, s0, 0, v21, s0
	;; [unrolled: 2-line block ×10, first 2 shown]
	v_add_co_u32 v51, s0, 0x5000, v20
	s_clause 0x5
	global_load_dwordx4 v[8:11], v[20:21], off
	global_load_dwordx4 v[4:7], v[20:21], off offset:1872
	global_load_dwordx4 v[24:27], v[0:1], off offset:992
	;; [unrolled: 1-line block ×5, first 2 shown]
	v_add_co_ci_u32_e64 v52, s0, 0, v21, s0
	s_clause 0x5
	global_load_dwordx4 v[32:35], v[22:23], off offset:1520
	global_load_dwordx4 v[44:47], v[28:29], off offset:464
	;; [unrolled: 1-line block ×6, first 2 shown]
.LBB0_11:
	s_or_b32 exec_lo, exec_lo, s1
	s_waitcnt vmcnt(8)
	v_add_f64 v[16:17], v[4:5], -v[16:17]
	v_add_f64 v[55:56], v[8:9], -v[24:25]
	s_waitcnt vmcnt(6)
	v_add_f64 v[59:60], v[0:1], -v[12:13]
	v_add_f64 v[12:13], v[10:11], -v[26:27]
	;; [unrolled: 3-line block ×3, first 2 shown]
	v_add_f64 v[36:37], v[34:35], -v[46:47]
	v_add_f64 v[63:64], v[28:29], -v[40:41]
	;; [unrolled: 1-line block ×5, first 2 shown]
	v_lshl_add_u32 v51, v50, 4, 0
	v_lshlrev_b32_e32 v24, 3, v50
	v_add_nc_u32_e32 v90, 0x75, v50
	v_add_nc_u32_e32 v86, 0x15f, v50
	v_add_nc_u32_e32 v87, 0xea, v50
	v_add_nc_u32_e32 v71, 0x1d4, v50
	v_sub_nc_u32_e32 v88, v51, v24
	v_add_nc_u32_e32 v83, 0x249, v50
	v_and_b32_e32 v84, 1, v50
	v_and_b32_e32 v91, 1, v90
	;; [unrolled: 1-line block ×3, first 2 shown]
	v_fma_f64 v[14:15], v[4:5], 2.0, -v[16:17]
	v_add_f64 v[4:5], v[22:23], -v[38:39]
	v_fma_f64 v[53:54], v[8:9], 2.0, -v[55:56]
	v_fma_f64 v[10:11], v[10:11], 2.0, -v[12:13]
	;; [unrolled: 1-line block ×10, first 2 shown]
	v_lshl_add_u32 v0, v90, 4, 0
	v_lshl_add_u32 v32, v86, 4, 0
	v_add_nc_u32_e32 v85, 0x1400, v88
	v_lshl_add_u32 v1, v87, 4, 0
	v_lshl_add_u32 v33, v71, 4, 0
	v_add_nc_u32_e32 v52, 0x400, v88
	v_lshl_add_u32 v46, v83, 4, 0
	v_add_nc_u32_e32 v89, 0x1c00, v88
	v_and_b32_e32 v93, 1, v83
	v_add_nc_u32_e32 v72, 0xc00, v88
	ds_write_b128 v51, v[53:56]
	ds_write_b128 v0, v[14:17]
	;; [unrolled: 1-line block ×6, first 2 shown]
	v_fma_f64 v[2:3], v[22:23], 2.0, -v[4:5]
	s_waitcnt lgkmcnt(0)
	s_barrier
	buffer_gl0_inv
	v_add_nc_u32_e32 v99, 0x2400, v88
	ds_read2_b64 v[6:9], v88 offset1:117
	ds_read2_b64 v[14:17], v85 offset0:62 offset1:179
	ds_read2_b64 v[18:21], v52 offset0:106 offset1:223
	;; [unrolled: 1-line block ×5, first 2 shown]
	s_waitcnt lgkmcnt(0)
	s_barrier
	buffer_gl0_inv
	ds_write_b128 v51, v[10:13]
	ds_write_b128 v0, v[24:27]
	;; [unrolled: 1-line block ×3, first 2 shown]
	v_lshlrev_b32_e32 v0, 4, v84
	v_lshlrev_b32_e32 v26, 4, v93
	ds_write_b128 v32, v[34:37]
	ds_write_b128 v33, v[73:76]
	ds_write_b128 v46, v[2:5]
	v_lshlrev_b32_e32 v4, 4, v91
	v_lshlrev_b32_e32 v5, 4, v92
	s_waitcnt lgkmcnt(0)
	s_barrier
	buffer_gl0_inv
	s_clause 0x3
	global_load_dwordx4 v[0:3], v0, s[8:9]
	global_load_dwordx4 v[10:13], v4, s[8:9]
	;; [unrolled: 1-line block ×4, first 2 shown]
	ds_read2_b64 v[36:39], v85 offset0:62 offset1:179
	ds_read2_b64 v[57:60], v89 offset0:40 offset1:157
	;; [unrolled: 1-line block ×3, first 2 shown]
	v_lshlrev_b32_e32 v51, 1, v50
	v_and_b32_e32 v111, 3, v50
	v_and_b32_e32 v112, 3, v90
	;; [unrolled: 1-line block ×4, first 2 shown]
	s_mov_b32 s4, 0xe8584caa
	s_mov_b32 s5, 0x3febb67a
	;; [unrolled: 1-line block ×4, first 2 shown]
	v_cmp_gt_u32_e64 s0, 0x6c, v50
	s_waitcnt vmcnt(3) lgkmcnt(2)
	v_mul_f64 v[4:5], v[36:37], v[2:3]
	s_waitcnt vmcnt(2)
	v_mul_f64 v[26:27], v[38:39], v[12:13]
	s_waitcnt lgkmcnt(1)
	v_mul_f64 v[40:41], v[57:58], v[2:3]
	s_waitcnt lgkmcnt(0)
	v_mul_f64 v[65:66], v[61:62], v[2:3]
	v_mul_f64 v[69:70], v[14:15], v[2:3]
	s_waitcnt vmcnt(1)
	v_mul_f64 v[46:47], v[59:60], v[24:25]
	s_waitcnt vmcnt(0)
	v_mul_f64 v[67:68], v[63:64], v[34:35]
	v_mul_f64 v[73:74], v[16:17], v[12:13]
	v_mul_f64 v[75:76], v[28:29], v[2:3]
	v_mul_f64 v[77:78], v[30:31], v[24:25]
	v_mul_f64 v[79:80], v[53:54], v[2:3]
	v_mul_f64 v[34:35], v[55:56], v[34:35]
	v_fma_f64 v[81:82], v[14:15], v[0:1], -v[4:5]
	v_fma_f64 v[16:17], v[16:17], v[10:11], -v[26:27]
	;; [unrolled: 1-line block ×4, first 2 shown]
	v_fma_f64 v[36:37], v[36:37], v[0:1], v[69:70]
	v_fma_f64 v[30:31], v[30:31], v[22:23], -v[46:47]
	v_fma_f64 v[46:47], v[55:56], v[32:33], -v[67:68]
	v_fma_f64 v[10:11], v[38:39], v[10:11], v[73:74]
	v_fma_f64 v[38:39], v[57:58], v[0:1], v[75:76]
	;; [unrolled: 1-line block ×3, first 2 shown]
	ds_read2_b64 v[2:5], v88 offset1:117
	ds_read2_b64 v[12:15], v52 offset0:106 offset1:223
	ds_read2_b64 v[24:27], v72 offset0:84 offset1:201
	v_fma_f64 v[0:1], v[61:62], v[0:1], v[79:80]
	v_fma_f64 v[32:33], v[63:64], v[32:33], v[34:35]
	v_and_or_b32 v56, 0xfc, v51, v84
	v_lshlrev_b32_e32 v53, 1, v90
	v_lshlrev_b32_e32 v54, 1, v87
	;; [unrolled: 1-line block ×4, first 2 shown]
	v_lshl_add_u32 v68, v56, 3, 0
	v_and_or_b32 v62, 0x1fc, v53, v91
	v_and_or_b32 v63, 0x3fc, v54, v84
	;; [unrolled: 1-line block ×3, first 2 shown]
	v_add_f64 v[34:35], v[6:7], -v[81:82]
	v_add_f64 v[16:17], v[8:9], -v[16:17]
	;; [unrolled: 1-line block ×4, first 2 shown]
	v_and_or_b32 v65, 0x7fc, v65, v84
	v_add_f64 v[30:31], v[20:21], -v[30:31]
	s_waitcnt lgkmcnt(2)
	v_add_f64 v[36:37], v[2:3], -v[36:37]
	v_add_f64 v[46:47], v[44:45], -v[46:47]
	;; [unrolled: 1-line block ×3, first 2 shown]
	s_waitcnt lgkmcnt(1)
	v_add_f64 v[38:39], v[12:13], -v[38:39]
	v_add_f64 v[58:59], v[14:15], -v[22:23]
	s_waitcnt lgkmcnt(0)
	v_add_f64 v[60:61], v[24:25], -v[0:1]
	v_add_f64 v[32:33], v[26:27], -v[32:33]
	v_lshl_add_u32 v70, v62, 3, 0
	v_lshl_add_u32 v71, v63, 3, 0
	;; [unrolled: 1-line block ×4, first 2 shown]
	v_lshlrev_b32_e32 v66, 1, v83
	v_lshlrev_b32_e32 v67, 5, v111
	;; [unrolled: 1-line block ×5, first 2 shown]
	v_fma_f64 v[0:1], v[6:7], 2.0, -v[34:35]
	v_fma_f64 v[6:7], v[8:9], 2.0, -v[16:17]
	;; [unrolled: 1-line block ×4, first 2 shown]
	v_and_or_b32 v66, 0x5fc, v66, v93
	v_fma_f64 v[10:11], v[20:21], 2.0, -v[30:31]
	v_fma_f64 v[42:43], v[2:3], 2.0, -v[36:37]
	;; [unrolled: 1-line block ×8, first 2 shown]
	v_lshl_add_u32 v66, v66, 3, 0
	s_barrier
	buffer_gl0_inv
	ds_write2_b64 v68, v[0:1], v[34:35] offset1:2
	ds_write2_b64 v70, v[6:7], v[16:17] offset1:2
	;; [unrolled: 1-line block ×6, first 2 shown]
	s_waitcnt lgkmcnt(0)
	s_barrier
	buffer_gl0_inv
	ds_read2_b64 v[0:3], v88 offset1:117
	ds_read2_b64 v[4:7], v72 offset0:84 offset1:201
	ds_read2_b64 v[8:11], v89 offset0:40 offset1:157
	;; [unrolled: 1-line block ×5, first 2 shown]
	s_waitcnt lgkmcnt(0)
	s_barrier
	buffer_gl0_inv
	ds_write2_b64 v68, v[42:43], v[36:37] offset1:2
	ds_write2_b64 v70, v[44:45], v[56:57] offset1:2
	ds_write2_b64 v71, v[62:63], v[38:39] offset1:2
	ds_write2_b64 v74, v[64:65], v[58:59] offset1:2
	ds_write2_b64 v75, v[24:25], v[60:61] offset1:2
	ds_write2_b64 v66, v[26:27], v[32:33] offset1:2
	s_waitcnt lgkmcnt(0)
	s_barrier
	buffer_gl0_inv
	s_clause 0x7
	global_load_dwordx4 v[24:27], v67, s[8:9] offset:32
	global_load_dwordx4 v[28:31], v69, s[8:9] offset:32
	;; [unrolled: 1-line block ×8, first 2 shown]
	ds_read2_b64 v[81:84], v72 offset0:84 offset1:201
	ds_read2_b64 v[91:94], v89 offset0:40 offset1:157
	;; [unrolled: 1-line block ×4, first 2 shown]
	v_lshrrev_b32_e32 v89, 2, v86
	s_waitcnt vmcnt(7) lgkmcnt(3)
	v_mul_f64 v[32:33], v[81:82], v[26:27]
	s_waitcnt vmcnt(6)
	v_mul_f64 v[34:35], v[83:84], v[30:31]
	s_waitcnt vmcnt(5) lgkmcnt(2)
	v_mul_f64 v[40:41], v[91:92], v[46:47]
	s_waitcnt vmcnt(4)
	v_mul_f64 v[42:43], v[93:94], v[38:39]
	;; [unrolled: 4-line block ×4, first 2 shown]
	v_mul_f64 v[26:27], v[4:5], v[26:27]
	v_mul_f64 v[30:31], v[6:7], v[30:31]
	;; [unrolled: 1-line block ×8, first 2 shown]
	v_fma_f64 v[56:57], v[4:5], v[24:25], -v[32:33]
	v_fma_f64 v[34:35], v[6:7], v[28:29], -v[34:35]
	;; [unrolled: 1-line block ×8, first 2 shown]
	v_fma_f64 v[66:67], v[81:82], v[24:25], v[26:27]
	v_fma_f64 v[60:61], v[83:84], v[28:29], v[30:31]
	;; [unrolled: 1-line block ×8, first 2 shown]
	v_lshrrev_b32_e32 v91, 2, v87
	v_mul_u32_u24_e32 v80, 12, v89
                                        ; implicit-def: $vgpr82_vgpr83
	v_mul_u32_u24_e32 v79, 12, v91
	v_add_f64 v[18:19], v[0:1], v[56:57]
	v_add_f64 v[20:21], v[2:3], v[34:35]
	;; [unrolled: 1-line block ×8, first 2 shown]
	v_add_f64 v[28:29], v[66:67], -v[44:45]
	v_add_f64 v[16:17], v[60:61], -v[36:37]
	;; [unrolled: 1-line block ×4, first 2 shown]
	v_add_f64 v[22:23], v[20:21], v[42:43]
	v_fma_f64 v[0:1], v[4:5], -0.5, v[0:1]
	v_fma_f64 v[2:3], v[6:7], -0.5, v[2:3]
	v_lshrrev_b32_e32 v4, 2, v50
	v_lshrrev_b32_e32 v5, 2, v90
	v_fma_f64 v[8:9], v[8:9], -0.5, v[12:13]
	v_fma_f64 v[75:76], v[10:11], -0.5, v[14:15]
	v_add_f64 v[12:13], v[24:25], v[46:47]
	v_mul_u32_u24_e32 v77, 12, v4
	v_mul_u32_u24_e32 v78, 12, v5
	v_add_f64 v[4:5], v[18:19], v[58:59]
	v_add_f64 v[10:11], v[26:27], v[40:41]
	v_fma_f64 v[6:7], v[28:29], s[4:5], v[0:1]
	v_fma_f64 v[20:21], v[28:29], s[6:7], v[0:1]
	;; [unrolled: 1-line block ×8, first 2 shown]
	ds_read2_b64 v[28:31], v88 offset1:117
	ds_read2_b64 v[0:3], v52 offset0:106 offset1:223
	v_or_b32_e32 v73, v77, v111
	v_or_b32_e32 v74, v78, v112
	;; [unrolled: 1-line block ×4, first 2 shown]
	s_waitcnt lgkmcnt(0)
	v_lshl_add_u32 v76, v73, 3, 0
	v_lshl_add_u32 v75, v74, 3, 0
	;; [unrolled: 1-line block ×4, first 2 shown]
	s_barrier
	buffer_gl0_inv
	ds_write2_b64 v76, v[4:5], v[6:7] offset1:4
	ds_write_b64 v76, v[20:21] offset:64
	ds_write2_b64 v75, v[22:23], v[24:25] offset1:4
	ds_write_b64 v75, v[26:27] offset:64
	;; [unrolled: 2-line block ×4, first 2 shown]
	s_waitcnt lgkmcnt(0)
	s_barrier
	buffer_gl0_inv
	s_and_saveexec_b32 s1, s0
	s_cbranch_execz .LBB0_13
; %bb.12:
	v_add_nc_u32_e32 v8, 0x1000, v88
	v_add_nc_u32_e32 v9, 0x1800, v88
	;; [unrolled: 1-line block ×3, first 2 shown]
	ds_read2_b64 v[4:7], v88 offset1:108
	ds_read2_b64 v[20:23], v52 offset0:88 offset1:196
	ds_read2_b64 v[24:27], v72 offset0:48 offset1:156
	;; [unrolled: 1-line block ×5, first 2 shown]
	ds_read_b64 v[82:83], v88 offset:10368
.LBB0_13:
	s_or_b32 exec_lo, exec_lo, s1
	v_add_f64 v[77:78], v[66:67], v[44:45]
	v_add_f64 v[79:80], v[60:61], v[36:37]
	;; [unrolled: 1-line block ×5, first 2 shown]
	v_add_f64 v[56:57], v[56:57], -v[58:59]
	v_add_f64 v[58:59], v[30:31], v[60:61]
	v_add_f64 v[60:61], v[0:1], v[62:63]
	;; [unrolled: 1-line block ×3, first 2 shown]
	v_add_f64 v[34:35], v[34:35], -v[42:43]
	v_add_f64 v[38:39], v[38:39], -v[46:47]
	s_waitcnt lgkmcnt(0)
	s_barrier
	buffer_gl0_inv
	v_fma_f64 v[28:29], v[77:78], -0.5, v[28:29]
	v_fma_f64 v[64:65], v[79:80], -0.5, v[30:31]
	;; [unrolled: 1-line block ×3, first 2 shown]
	v_add_f64 v[79:80], v[32:33], -v[40:41]
	v_fma_f64 v[84:85], v[92:93], -0.5, v[2:3]
	v_add_f64 v[0:1], v[66:67], v[44:45]
	v_add_f64 v[42:43], v[58:59], v[36:37]
	;; [unrolled: 1-line block ×4, first 2 shown]
	v_fma_f64 v[2:3], v[56:57], s[6:7], v[28:29]
	v_fma_f64 v[40:41], v[56:57], s[4:5], v[28:29]
	;; [unrolled: 1-line block ×8, first 2 shown]
                                        ; implicit-def: $vgpr84_vgpr85
	ds_write2_b64 v76, v[0:1], v[2:3] offset1:4
	ds_write_b64 v76, v[40:41] offset:64
	ds_write2_b64 v75, v[42:43], v[44:45] offset1:4
	ds_write_b64 v75, v[46:47] offset:64
	;; [unrolled: 2-line block ×4, first 2 shown]
	s_waitcnt lgkmcnt(0)
	s_barrier
	buffer_gl0_inv
	s_and_saveexec_b32 s1, s0
	s_cbranch_execz .LBB0_15
; %bb.14:
	v_add_nc_u32_e32 v28, 0x400, v88
	v_add_nc_u32_e32 v29, 0xc00, v88
	;; [unrolled: 1-line block ×5, first 2 shown]
	ds_read2_b64 v[0:3], v88 offset1:108
	ds_read2_b64 v[40:43], v28 offset0:88 offset1:196
	ds_read2_b64 v[44:47], v29 offset0:48 offset1:156
	ds_read2_b64 v[32:35], v30 offset0:136 offset1:244
	ds_read2_b64 v[28:31], v31 offset0:96 offset1:204
	ds_read2_b64 v[36:39], v36 offset0:56 offset1:164
	ds_read_b64 v[84:85], v88 offset:10368
.LBB0_15:
	s_or_b32 exec_lo, exec_lo, s1
	v_and_b32_e32 v52, 0xff, v50
	v_mov_b32_e32 v57, 12
	v_mul_lo_u16 v52, 0xab, v52
	v_lshrrev_b16 v52, 11, v52
	v_mul_lo_u16 v56, v52, 12
	v_sub_nc_u16 v92, v50, v56
	v_mul_u32_u24_sdwa v56, v92, v57 dst_sel:DWORD dst_unused:UNUSED_PAD src0_sel:BYTE_0 src1_sel:DWORD
	v_lshlrev_b32_e32 v76, 4, v56
	s_clause 0xb
	global_load_dwordx4 v[56:59], v76, s[8:9] offset:176
	global_load_dwordx4 v[60:63], v76, s[8:9] offset:192
	;; [unrolled: 1-line block ×12, first 2 shown]
	s_waitcnt vmcnt(0) lgkmcnt(0)
	s_barrier
	buffer_gl0_inv
	v_mul_f64 v[76:77], v[40:41], v[58:59]
	v_mul_f64 v[58:59], v[20:21], v[58:59]
	;; [unrolled: 1-line block ×24, first 2 shown]
	v_fma_f64 v[74:75], v[20:21], v[56:57], -v[76:77]
	v_fma_f64 v[76:77], v[40:41], v[56:57], v[58:59]
	v_fma_f64 v[70:71], v[22:23], v[60:61], -v[117:118]
	v_fma_f64 v[58:59], v[42:43], v[60:61], v[62:63]
	;; [unrolled: 2-line block ×12, first 2 shown]
	s_and_saveexec_b32 s1, s0
	s_cbranch_execz .LBB0_17
; %bb.16:
	v_add_f64 v[8:9], v[4:5], v[78:79]
	v_add_f64 v[6:7], v[80:81], -v[26:27]
	s_mov_b32 s12, 0x4bc48dbf
	s_mov_b32 s18, 0x24c2f84
	;; [unrolled: 1-line block ×4, first 2 shown]
	v_add_f64 v[12:13], v[76:77], -v[28:29]
	v_add_f64 v[14:15], v[78:79], v[38:39]
	s_mov_b32 s4, 0x66966769
	s_mov_b32 s22, 0x2ef20147
	;; [unrolled: 1-line block ×12, first 2 shown]
	v_add_f64 v[18:19], v[58:59], -v[30:31]
	v_add_f64 v[24:25], v[74:75], v[36:37]
	v_add_f64 v[8:9], v[8:9], v[74:75]
	v_mul_f64 v[20:21], v[6:7], s[12:13]
	v_mul_f64 v[22:23], v[6:7], s[18:19]
	;; [unrolled: 1-line block ×4, first 2 shown]
	v_add_f64 v[2:3], v[42:43], -v[40:41]
	v_mul_f64 v[82:83], v[12:13], s[38:39]
	v_mul_f64 v[95:96], v[12:13], s[4:5]
	v_add_f64 v[10:11], v[44:45], -v[34:35]
	v_add_f64 v[16:17], v[56:57], -v[32:33]
	s_mov_b32 s6, 0xb2365da1
	s_mov_b32 s20, 0x42a4c3d2
	s_mov_b32 s16, 0xe00740e9
	s_mov_b32 s24, 0xebaa3ed8
	s_mov_b32 s7, 0xbfd6b1d8
	s_mov_b32 s21, 0x3fea55e2
	s_mov_b32 s17, 0x3fec55a7
	s_mov_b32 s29, 0xbfea55e2
	s_mov_b32 s35, 0x3fe5384d
	s_mov_b32 s25, 0x3fbedb7d
	s_mov_b32 s34, s18
	s_mov_b32 s28, s20
	v_add_f64 v[8:9], v[8:9], v[70:71]
	v_fma_f64 v[97:98], v[14:15], s[14:15], v[20:21]
	v_fma_f64 v[20:21], v[14:15], s[14:15], -v[20:21]
	v_fma_f64 v[99:100], v[14:15], s[10:11], v[22:23]
	v_fma_f64 v[22:23], v[14:15], s[10:11], -v[22:23]
	v_add_f64 v[101:102], v[70:71], v[72:73]
	v_mul_f64 v[105:106], v[12:13], s[34:35]
	v_mul_f64 v[107:108], v[12:13], s[12:13]
	;; [unrolled: 1-line block ×4, first 2 shown]
	v_fma_f64 v[113:114], v[24:25], s[16:17], v[82:83]
	v_fma_f64 v[82:83], v[24:25], s[16:17], -v[82:83]
	v_fma_f64 v[115:116], v[14:15], s[6:7], v[84:85]
	v_fma_f64 v[84:85], v[14:15], s[6:7], -v[84:85]
	v_fma_f64 v[117:118], v[14:15], s[24:25], v[93:94]
	v_fma_f64 v[119:120], v[24:25], s[24:25], v[95:96]
	v_mul_f64 v[129:130], v[6:7], s[28:29]
	v_mul_f64 v[121:122], v[10:11], s[38:39]
	;; [unrolled: 1-line block ×5, first 2 shown]
	s_mov_b32 s39, 0xbfddbe06
	v_add_f64 v[8:9], v[8:9], v[66:67]
	v_add_f64 v[97:98], v[4:5], v[97:98]
	;; [unrolled: 1-line block ×4, first 2 shown]
	v_mul_f64 v[6:7], v[6:7], s[38:39]
	v_fma_f64 v[95:96], v[24:25], s[24:25], -v[95:96]
	v_add_f64 v[22:23], v[4:5], v[22:23]
	s_mov_b32 s26, 0x1ea71119
	s_mov_b32 s27, 0x3fe22d96
	;; [unrolled: 1-line block ×4, first 2 shown]
	v_add_f64 v[103:104], v[66:67], v[68:69]
	v_fma_f64 v[131:132], v[24:25], s[10:11], v[105:106]
	v_fma_f64 v[105:106], v[24:25], s[10:11], -v[105:106]
	v_fma_f64 v[133:134], v[24:25], s[14:15], v[107:108]
	v_fma_f64 v[135:136], v[101:102], s[10:11], v[109:110]
	v_fma_f64 v[109:110], v[101:102], s[10:11], -v[109:110]
	v_fma_f64 v[137:138], v[101:102], s[26:27], v[111:112]
	v_add_f64 v[115:116], v[4:5], v[115:116]
	v_add_f64 v[84:85], v[4:5], v[84:85]
	;; [unrolled: 1-line block ×3, first 2 shown]
	v_mul_f64 v[139:140], v[12:13], s[22:23]
	v_add_f64 v[8:9], v[8:9], v[62:63]
	v_add_f64 v[97:98], v[113:114], v[97:98]
	;; [unrolled: 1-line block ×4, first 2 shown]
	v_mul_f64 v[99:100], v[16:17], s[20:21]
	v_mul_f64 v[119:120], v[16:17], s[30:31]
	v_fma_f64 v[93:94], v[14:15], s[24:25], -v[93:94]
	v_fma_f64 v[141:142], v[14:15], s[26:27], v[129:130]
	v_fma_f64 v[129:130], v[14:15], s[26:27], -v[129:130]
	v_mul_f64 v[12:13], v[12:13], s[28:29]
	v_fma_f64 v[111:112], v[101:102], s[26:27], -v[111:112]
	v_fma_f64 v[145:146], v[14:15], s[16:17], v[6:7]
	v_fma_f64 v[6:7], v[14:15], s[16:17], -v[6:7]
	v_add_f64 v[14:15], v[95:96], v[22:23]
	s_mov_b32 s41, 0x3fedeba7
	s_mov_b32 s40, s22
	v_fma_f64 v[143:144], v[101:102], s[16:17], v[123:124]
	v_mul_f64 v[113:114], v[18:19], s[40:41]
	v_add_f64 v[22:23], v[131:132], v[115:116]
	v_add_f64 v[84:85], v[105:106], v[84:85]
	;; [unrolled: 1-line block ×3, first 2 shown]
	v_mul_f64 v[115:116], v[16:17], s[36:37]
	v_add_f64 v[8:9], v[8:9], v[46:47]
	v_add_f64 v[97:98], v[135:136], v[97:98]
	;; [unrolled: 1-line block ×4, first 2 shown]
	v_fma_f64 v[105:106], v[103:104], s[26:27], v[99:100]
	v_fma_f64 v[109:110], v[101:102], s[16:17], -v[123:124]
	v_add_f64 v[117:118], v[62:63], v[64:65]
	v_mul_f64 v[123:124], v[10:11], s[22:23]
	v_fma_f64 v[99:100], v[103:104], s[26:27], -v[99:100]
	v_fma_f64 v[131:132], v[103:104], s[14:15], v[119:120]
	v_add_f64 v[93:94], v[4:5], v[93:94]
	v_fma_f64 v[107:108], v[24:25], s[14:15], -v[107:108]
	v_add_f64 v[133:134], v[4:5], v[141:142]
	v_add_f64 v[129:130], v[4:5], v[129:130]
	v_fma_f64 v[135:136], v[24:25], s[6:7], v[139:140]
	v_fma_f64 v[137:138], v[24:25], s[6:7], -v[139:140]
	v_mul_f64 v[139:140], v[18:19], s[12:13]
	v_add_f64 v[14:15], v[111:112], v[14:15]
	v_add_f64 v[111:112], v[4:5], v[145:146]
	v_fma_f64 v[141:142], v[24:25], s[26:27], v[12:13]
	v_mul_f64 v[18:19], v[18:19], s[36:37]
	v_add_f64 v[4:5], v[4:5], v[6:7]
	v_fma_f64 v[12:13], v[24:25], s[26:27], -v[12:13]
	v_add_f64 v[8:9], v[8:9], v[60:61]
	v_add_f64 v[22:23], v[143:144], v[22:23]
	v_fma_f64 v[143:144], v[101:102], s[6:7], v[113:114]
	v_add_f64 v[6:7], v[105:106], v[97:98]
	v_fma_f64 v[24:25], v[103:104], s[14:15], -v[119:120]
	v_fma_f64 v[97:98], v[103:104], s[24:25], v[115:116]
	v_fma_f64 v[105:106], v[117:118], s[6:7], v[123:124]
	v_add_f64 v[20:21], v[99:100], v[20:21]
	v_add_f64 v[82:83], v[131:132], v[82:83]
	v_fma_f64 v[99:100], v[117:118], s[6:7], -v[123:124]
	v_add_f64 v[93:94], v[107:108], v[93:94]
	v_fma_f64 v[107:108], v[117:118], s[16:17], v[121:122]
	v_fma_f64 v[113:114], v[101:102], s[6:7], -v[113:114]
	v_add_f64 v[119:120], v[135:136], v[133:134]
	v_add_f64 v[123:124], v[137:138], v[129:130]
	v_fma_f64 v[129:130], v[101:102], s[14:15], v[139:140]
	v_mul_f64 v[131:132], v[16:17], s[34:35]
	v_fma_f64 v[133:134], v[101:102], s[14:15], -v[139:140]
	v_add_f64 v[84:85], v[109:110], v[84:85]
	v_add_f64 v[109:110], v[141:142], v[111:112]
	v_fma_f64 v[111:112], v[101:102], s[24:25], v[18:19]
	v_mul_f64 v[16:17], v[16:17], s[22:23]
	v_fma_f64 v[18:19], v[101:102], s[24:25], -v[18:19]
	v_add_f64 v[4:5], v[12:13], v[4:5]
	v_add_f64 v[8:9], v[8:9], v[64:65]
	;; [unrolled: 1-line block ×6, first 2 shown]
	v_fma_f64 v[22:23], v[103:104], s[24:25], -v[115:116]
	v_mul_f64 v[24:25], v[10:11], s[30:31]
	v_add_f64 v[20:21], v[99:100], v[20:21]
	v_fma_f64 v[97:98], v[103:104], s[16:17], v[125:126]
	v_add_f64 v[82:83], v[107:108], v[82:83]
	v_add_f64 v[93:94], v[113:114], v[93:94]
	v_fma_f64 v[99:100], v[103:104], s[16:17], -v[125:126]
	v_mul_f64 v[101:102], v[10:11], s[28:29]
	v_add_f64 v[105:106], v[129:130], v[119:120]
	v_fma_f64 v[107:108], v[103:104], s[10:11], v[131:132]
	v_add_f64 v[113:114], v[133:134], v[123:124]
	v_fma_f64 v[115:116], v[103:104], s[10:11], -v[131:132]
	v_mul_f64 v[119:120], v[10:11], s[4:5]
	v_add_f64 v[109:110], v[111:112], v[109:110]
	v_fma_f64 v[111:112], v[103:104], s[6:7], v[16:17]
	v_fma_f64 v[16:17], v[103:104], s[6:7], -v[16:17]
	v_mul_f64 v[10:11], v[10:11], s[18:19]
	v_add_f64 v[4:5], v[18:19], v[4:5]
	v_add_f64 v[8:9], v[8:9], v[68:69]
	;; [unrolled: 1-line block ×3, first 2 shown]
	v_fma_f64 v[103:104], v[117:118], s[16:17], -v[121:122]
	v_mul_f64 v[121:122], v[2:3], s[4:5]
	v_add_f64 v[22:23], v[22:23], v[84:85]
	v_fma_f64 v[84:85], v[117:118], s[14:15], v[24:25]
	v_fma_f64 v[24:25], v[117:118], s[14:15], -v[24:25]
	v_add_f64 v[95:96], v[97:98], v[95:96]
	v_mul_f64 v[97:98], v[2:3], s[20:21]
	v_mul_f64 v[125:126], v[2:3], s[18:19]
	v_add_f64 v[93:94], v[99:100], v[93:94]
	v_fma_f64 v[99:100], v[117:118], s[26:27], v[101:102]
	v_fma_f64 v[101:102], v[117:118], s[26:27], -v[101:102]
	v_add_f64 v[105:106], v[107:108], v[105:106]
	v_mul_f64 v[123:124], v[2:3], s[22:23]
	v_add_f64 v[107:108], v[115:116], v[113:114]
	v_fma_f64 v[115:116], v[117:118], s[24:25], -v[119:120]
	v_fma_f64 v[113:114], v[117:118], s[24:25], v[119:120]
	v_add_f64 v[109:110], v[111:112], v[109:110]
	v_mul_f64 v[2:3], v[2:3], s[12:13]
	v_fma_f64 v[111:112], v[117:118], s[10:11], -v[10:11]
	v_add_f64 v[4:5], v[16:17], v[4:5]
	v_add_f64 v[8:9], v[8:9], v[72:73]
	v_fma_f64 v[10:11], v[117:118], s[10:11], v[10:11]
	v_add_f64 v[12:13], v[103:104], v[12:13]
	v_fma_f64 v[16:17], v[18:19], s[24:25], v[121:122]
	v_fma_f64 v[103:104], v[18:19], s[24:25], -v[121:122]
	v_add_f64 v[14:15], v[84:85], v[14:15]
	v_add_f64 v[22:23], v[24:25], v[22:23]
	v_fma_f64 v[121:122], v[18:19], s[16:17], -v[127:128]
	v_fma_f64 v[24:25], v[18:19], s[26:27], v[97:98]
	v_fma_f64 v[119:120], v[18:19], s[10:11], -v[125:126]
	v_fma_f64 v[97:98], v[18:19], s[26:27], -v[97:98]
	v_add_f64 v[95:96], v[99:100], v[95:96]
	v_add_f64 v[93:94], v[101:102], v[93:94]
	v_fma_f64 v[99:100], v[18:19], s[10:11], v[125:126]
	v_fma_f64 v[117:118], v[18:19], s[6:7], -v[123:124]
	v_fma_f64 v[84:85], v[18:19], s[6:7], v[123:124]
	v_add_f64 v[107:108], v[115:116], v[107:108]
	v_fma_f64 v[101:102], v[18:19], s[16:17], v[127:128]
	v_add_f64 v[105:106], v[113:114], v[105:106]
	v_fma_f64 v[113:114], v[18:19], s[14:15], v[2:3]
	v_fma_f64 v[2:3], v[18:19], s[14:15], -v[2:3]
	v_add_f64 v[4:5], v[111:112], v[4:5]
	v_add_f64 v[8:9], v[8:9], v[36:37]
	;; [unrolled: 1-line block ×3, first 2 shown]
	v_mov_b32_e32 v109, 0x4e0
	v_add_f64 v[6:7], v[16:17], v[6:7]
	v_add_f64 v[16:17], v[103:104], v[20:21]
	;; [unrolled: 1-line block ×13, first 2 shown]
	v_mov_b32_e32 v10, 3
	v_mul_u32_u24_sdwa v11, v52, v109 dst_sel:DWORD dst_unused:UNUSED_PAD src0_sel:WORD_0 src1_sel:DWORD
	v_lshlrev_b32_sdwa v10, v10, v92 dst_sel:DWORD dst_unused:UNUSED_PAD src0_sel:DWORD src1_sel:BYTE_0
	v_add3_u32 v10, 0, v11, v10
	ds_write2_b64 v10, v[24:25], v[20:21] offset0:24 offset1:36
	ds_write2_b64 v10, v[22:23], v[12:13] offset0:48 offset1:60
	;; [unrolled: 1-line block ×5, first 2 shown]
	ds_write2_b64 v10, v[4:5], v[2:3] offset1:12
	ds_write_b64 v10, v[8:9] offset:1152
.LBB0_17:
	s_or_b32 exec_lo, exec_lo, s1
	v_add_nc_u32_e32 v82, 0xc00, v88
	v_add_nc_u32_e32 v83, 0x1c00, v88
	v_add_nc_u32_e32 v84, 0x400, v88
	v_add_nc_u32_e32 v85, 0x1400, v88
	v_add_nc_u32_e32 v93, 0x2400, v88
	s_waitcnt lgkmcnt(0)
	s_barrier
	buffer_gl0_inv
	ds_read2_b64 v[2:5], v88 offset1:117
	ds_read2_b64 v[18:21], v82 offset0:84 offset1:201
	ds_read2_b64 v[22:25], v83 offset0:40 offset1:157
	;; [unrolled: 1-line block ×5, first 2 shown]
	s_waitcnt lgkmcnt(0)
	s_barrier
	buffer_gl0_inv
	s_and_saveexec_b32 s33, s0
	s_cbranch_execz .LBB0_19
; %bb.18:
	v_add_f64 v[94:95], v[0:1], v[80:81]
	v_add_f64 v[38:39], v[78:79], -v[38:39]
	v_add_f64 v[36:37], v[74:75], -v[36:37]
	v_add_f64 v[74:75], v[58:59], v[30:31]
	v_add_f64 v[70:71], v[70:71], -v[72:73]
	v_add_f64 v[72:73], v[56:57], v[32:33]
	s_mov_b32 s22, 0x42a4c3d2
	s_mov_b32 s26, 0x66966769
	;; [unrolled: 1-line block ×11, first 2 shown]
	v_add_f64 v[80:81], v[80:81], v[26:27]
	s_mov_b32 s29, 0xbfcea1e5
	v_add_f64 v[46:47], v[46:47], -v[60:61]
	v_add_f64 v[66:67], v[66:67], -v[68:69]
	v_add_f64 v[68:69], v[44:45], v[34:35]
	v_add_f64 v[78:79], v[94:95], v[76:77]
	v_mul_f64 v[60:61], v[38:39], s[16:17]
	v_mul_f64 v[94:95], v[38:39], s[26:27]
	;; [unrolled: 1-line block ×4, first 2 shown]
	s_mov_b32 s0, 0xe00740e9
	s_mov_b32 s6, 0x1ea71119
	;; [unrolled: 1-line block ×17, first 2 shown]
	v_add_f64 v[58:59], v[78:79], v[58:59]
	v_mul_f64 v[78:79], v[38:39], s[22:23]
	v_mul_f64 v[38:39], v[38:39], s[28:29]
	v_add_f64 v[76:77], v[76:77], v[28:29]
	v_mul_f64 v[100:101], v[36:37], s[22:23]
	v_mul_f64 v[102:103], v[36:37], s[18:19]
	;; [unrolled: 1-line block ×6, first 2 shown]
	v_fma_f64 v[148:149], v[80:81], s[0:1], v[60:61]
	v_fma_f64 v[150:151], v[80:81], s[4:5], v[94:95]
	v_fma_f64 v[94:95], v[80:81], s[4:5], -v[94:95]
	v_fma_f64 v[152:153], v[80:81], s[10:11], v[96:97]
	v_fma_f64 v[154:155], v[80:81], s[12:13], v[98:99]
	v_add_f64 v[62:63], v[62:63], -v[64:65]
	v_add_f64 v[64:65], v[42:43], v[40:41]
	v_fma_f64 v[96:97], v[80:81], s[10:11], -v[96:97]
	v_fma_f64 v[98:99], v[80:81], s[12:13], -v[98:99]
	s_mov_b32 s37, 0x3fedeba7
	s_mov_b32 s36, s18
	v_mul_f64 v[110:111], v[70:71], s[26:27]
	v_add_f64 v[56:57], v[58:59], v[56:57]
	v_mul_f64 v[112:113], v[70:71], s[28:29]
	v_fma_f64 v[156:157], v[80:81], s[14:15], v[38:39]
	v_fma_f64 v[38:39], v[80:81], s[14:15], -v[38:39]
	v_mul_f64 v[114:115], v[70:71], s[36:37]
	v_mul_f64 v[116:117], v[70:71], s[22:23]
	;; [unrolled: 1-line block ×4, first 2 shown]
	v_fma_f64 v[158:159], v[76:77], s[10:11], v[102:103]
	v_fma_f64 v[102:103], v[76:77], s[10:11], -v[102:103]
	v_fma_f64 v[160:161], v[76:77], s[14:15], v[104:105]
	v_fma_f64 v[104:105], v[76:77], s[14:15], -v[104:105]
	;; [unrolled: 2-line block ×5, first 2 shown]
	v_add_f64 v[94:95], v[0:1], v[94:95]
	v_add_f64 v[96:97], v[0:1], v[96:97]
	;; [unrolled: 1-line block ×3, first 2 shown]
	s_mov_b32 s39, 0x3fcea1e5
	v_add_f64 v[44:45], v[56:57], v[44:45]
	v_fma_f64 v[56:57], v[80:81], s[0:1], -v[60:61]
	v_fma_f64 v[60:61], v[80:81], s[6:7], v[78:79]
	v_fma_f64 v[78:79], v[80:81], s[6:7], -v[78:79]
	v_fma_f64 v[80:81], v[76:77], s[6:7], v[100:101]
	v_fma_f64 v[100:101], v[76:77], s[6:7], -v[100:101]
	v_add_f64 v[76:77], v[0:1], v[148:149]
	v_add_f64 v[148:149], v[0:1], v[150:151]
	;; [unrolled: 1-line block ×6, first 2 shown]
	s_mov_b32 s35, 0x3fea55e2
	s_mov_b32 s38, s28
	s_mov_b32 s34, s22
	v_mul_f64 v[58:59], v[66:67], s[18:19]
	v_mul_f64 v[120:121], v[66:67], s[30:31]
	;; [unrolled: 1-line block ×6, first 2 shown]
	v_fma_f64 v[166:167], v[74:75], s[14:15], v[112:113]
	v_add_f64 v[42:43], v[44:45], v[42:43]
	v_fma_f64 v[44:45], v[74:75], s[4:5], v[110:111]
	v_add_f64 v[60:61], v[0:1], v[60:61]
	v_add_f64 v[78:79], v[0:1], v[78:79]
	v_add_f64 v[0:1], v[0:1], v[56:57]
	v_fma_f64 v[110:111], v[74:75], s[4:5], -v[110:111]
	v_fma_f64 v[112:113], v[74:75], s[14:15], -v[112:113]
	v_fma_f64 v[168:169], v[74:75], s[10:11], v[114:115]
	v_fma_f64 v[114:115], v[74:75], s[10:11], -v[114:115]
	v_fma_f64 v[170:171], v[74:75], s[6:7], v[116:117]
	v_fma_f64 v[116:117], v[74:75], s[6:7], -v[116:117]
	v_fma_f64 v[176:177], v[74:75], s[0:1], v[70:71]
	v_fma_f64 v[70:71], v[74:75], s[0:1], -v[70:71]
	v_add_f64 v[36:37], v[36:37], v[38:39]
	v_add_f64 v[96:97], v[106:107], v[96:97]
	;; [unrolled: 1-line block ×3, first 2 shown]
	v_mul_f64 v[128:129], v[62:63], s[20:21]
	v_mul_f64 v[130:131], v[62:63], s[24:25]
	;; [unrolled: 1-line block ×3, first 2 shown]
	v_fma_f64 v[156:157], v[72:73], s[10:11], v[58:59]
	v_fma_f64 v[58:59], v[72:73], s[10:11], -v[58:59]
	v_fma_f64 v[56:57], v[72:73], s[12:13], v[120:121]
	v_add_f64 v[40:41], v[42:43], v[40:41]
	v_fma_f64 v[42:43], v[74:75], s[12:13], v[118:119]
	v_fma_f64 v[118:119], v[74:75], s[12:13], -v[118:119]
	v_add_f64 v[74:75], v[80:81], v[76:77]
	v_add_f64 v[60:61], v[158:159], v[60:61]
	;; [unrolled: 1-line block ×9, first 2 shown]
	v_fma_f64 v[120:121], v[72:73], s[12:13], -v[120:121]
	v_fma_f64 v[174:175], v[72:73], s[4:5], v[122:123]
	v_fma_f64 v[38:39], v[72:73], s[4:5], -v[122:123]
	v_fma_f64 v[106:107], v[72:73], s[14:15], -v[124:125]
	v_fma_f64 v[108:109], v[72:73], s[6:7], v[126:127]
	v_fma_f64 v[100:101], v[72:73], s[6:7], -v[126:127]
	v_fma_f64 v[126:127], v[72:73], s[0:1], v[66:67]
	v_fma_f64 v[66:67], v[72:73], s[0:1], -v[66:67]
	v_mul_f64 v[134:135], v[62:63], s[38:39]
	v_mul_f64 v[136:137], v[62:63], s[18:19]
	v_add_f64 v[34:35], v[40:41], v[34:35]
	v_fma_f64 v[40:41], v[72:73], s[14:15], v[124:125]
	v_mul_f64 v[62:63], v[62:63], s[16:17]
	v_add_f64 v[44:45], v[44:45], v[74:75]
	v_add_f64 v[60:61], v[166:167], v[60:61]
	;; [unrolled: 1-line block ×12, first 2 shown]
	v_mul_f64 v[138:139], v[46:47], s[28:29]
	v_mul_f64 v[140:141], v[46:47], s[20:21]
	;; [unrolled: 1-line block ×6, first 2 shown]
	v_fma_f64 v[122:123], v[68:69], s[12:13], v[128:129]
	v_add_f64 v[32:33], v[34:35], v[32:33]
	v_fma_f64 v[124:125], v[68:69], s[4:5], v[130:131]
	v_fma_f64 v[34:35], v[68:69], s[4:5], -v[130:131]
	v_fma_f64 v[96:97], v[68:69], s[6:7], v[132:133]
	v_add_f64 v[44:45], v[156:157], v[44:45]
	v_add_f64 v[56:57], v[56:57], v[60:61]
	;; [unrolled: 1-line block ×4, first 2 shown]
	v_fma_f64 v[102:103], v[68:69], s[14:15], v[134:135]
	v_fma_f64 v[114:115], v[68:69], s[0:1], v[62:63]
	v_add_f64 v[74:75], v[174:175], v[78:79]
	v_add_f64 v[40:41], v[40:41], v[80:81]
	v_fma_f64 v[110:111], v[68:69], s[10:11], v[136:137]
	v_fma_f64 v[112:113], v[68:69], s[10:11], -v[136:137]
	v_add_f64 v[42:43], v[108:109], v[42:43]
	v_add_f64 v[36:37], v[100:101], v[36:37]
	v_fma_f64 v[104:105], v[68:69], s[14:15], -v[134:135]
	v_fma_f64 v[62:63], v[68:69], s[0:1], -v[62:63]
	v_add_f64 v[38:39], v[38:39], v[70:71]
	v_add_f64 v[70:71], v[106:107], v[94:95]
	v_fma_f64 v[98:99], v[68:69], s[6:7], -v[132:133]
	v_add_f64 v[66:67], v[66:67], v[76:77]
	v_add_f64 v[30:31], v[32:33], v[30:31]
	v_fma_f64 v[32:33], v[68:69], s[12:13], -v[128:129]
	v_add_f64 v[0:1], v[58:59], v[0:1]
	v_fma_f64 v[68:69], v[64:65], s[14:15], v[138:139]
	v_fma_f64 v[76:77], v[64:65], s[12:13], v[140:141]
	;; [unrolled: 1-line block ×3, first 2 shown]
	v_fma_f64 v[46:47], v[64:65], s[0:1], -v[46:47]
	v_add_f64 v[44:45], v[122:123], v[44:45]
	v_add_f64 v[56:57], v[124:125], v[56:57]
	;; [unrolled: 1-line block ×4, first 2 shown]
	v_fma_f64 v[78:79], v[64:65], s[6:7], v[142:143]
	v_fma_f64 v[80:81], v[64:65], s[10:11], v[144:145]
	v_add_f64 v[72:73], v[102:103], v[74:75]
	v_add_f64 v[40:41], v[114:115], v[40:41]
	v_fma_f64 v[94:95], v[64:65], s[4:5], v[146:147]
	v_add_f64 v[42:43], v[110:111], v[42:43]
	v_add_f64 v[36:37], v[112:113], v[36:37]
	v_fma_f64 v[58:59], v[64:65], s[6:7], -v[142:143]
	v_add_f64 v[38:39], v[104:105], v[38:39]
	v_add_f64 v[62:63], v[62:63], v[70:71]
	v_fma_f64 v[70:71], v[64:65], s[10:11], -v[144:145]
	v_add_f64 v[28:29], v[30:31], v[28:29]
	v_fma_f64 v[30:31], v[64:65], s[4:5], -v[146:147]
	;; [unrolled: 2-line block ×3, first 2 shown]
	v_fma_f64 v[64:65], v[64:65], s[14:15], -v[138:139]
	v_add_f64 v[0:1], v[32:33], v[0:1]
	v_mov_b32_e32 v96, 0x4e0
	v_add_f64 v[32:33], v[68:69], v[44:45]
	v_add_f64 v[44:45], v[100:101], v[56:57]
	;; [unrolled: 1-line block ×12, first 2 shown]
	v_mov_b32_e32 v28, 3
	v_add_f64 v[0:1], v[64:65], v[0:1]
	v_mul_u32_u24_sdwa v29, v52, v96 dst_sel:DWORD dst_unused:UNUSED_PAD src0_sel:WORD_0 src1_sel:DWORD
	v_lshlrev_b32_sdwa v28, v28, v92 dst_sel:DWORD dst_unused:UNUSED_PAD src0_sel:DWORD src1_sel:BYTE_0
	v_add3_u32 v28, 0, v29, v28
	ds_write2_b64 v28, v[44:45], v[46:47] offset0:24 offset1:36
	ds_write2_b64 v28, v[56:57], v[40:41] offset0:48 offset1:60
	ds_write2_b64 v28, v[42:43], v[30:31] offset0:72 offset1:84
	ds_write2_b64 v28, v[36:37], v[38:39] offset0:96 offset1:108
	ds_write2_b64 v28, v[58:59], v[34:35] offset0:120 offset1:132
	ds_write2_b64 v28, v[26:27], v[32:33] offset1:12
	ds_write_b64 v28, v[0:1] offset:1152
.LBB0_19:
	s_or_b32 exec_lo, exec_lo, s33
	v_mov_b32_e32 v52, 0
	v_subrev_nc_u32_e32 v28, 39, v50
	v_lshrrev_b16 v29, 2, v87
	v_mov_b32_e32 v30, 0xd21
	s_waitcnt lgkmcnt(0)
	v_lshlrev_b64 v[0:1], 4, v[51:52]
	s_barrier
	buffer_gl0_inv
	s_mov_b32 s4, 0xe8584caa
	s_mov_b32 s5, 0x3febb67a
	;; [unrolled: 1-line block ×3, first 2 shown]
	v_add_co_u32 v26, s0, s8, v0
	v_add_co_ci_u32_e64 v27, s0, s9, v1, s0
	v_cmp_gt_u32_e64 s0, 39, v50
	v_cndmask_b32_e64 v90, v28, v90, s0
	v_mul_u32_u24_sdwa v28, v29, v30 dst_sel:DWORD dst_unused:UNUSED_PAD src0_sel:WORD_0 src1_sel:DWORD
	v_lshrrev_b16 v29, 2, v86
	v_add_co_u32 v0, s0, 0x800, v26
	v_add_co_ci_u32_e64 v1, s0, 0, v27, s0
	v_add_co_u32 v32, s0, 0x9a0, v26
	v_lshlrev_b32_e32 v51, 1, v90
	v_mul_u32_u24_sdwa v38, v29, v30 dst_sel:DWORD dst_unused:UNUSED_PAD src0_sel:WORD_0 src1_sel:DWORD
	v_add_co_ci_u32_e64 v33, s0, 0, v27, s0
	v_lshrrev_b32_e32 v92, 17, v28
	v_lshlrev_b64 v[36:37], 4, v[51:52]
	s_clause 0x1
	global_load_dwordx4 v[28:31], v[0:1], off offset:416
	global_load_dwordx4 v[32:35], v[32:33], off offset:16
	v_lshrrev_b32_e32 v1, 17, v38
	v_mov_b32_e32 v38, 5
	v_mul_lo_u16 v0, 0x9c, v92
	v_add_co_u32 v36, s0, s8, v36
	v_mul_lo_u16 v39, 0x9c, v1
	v_sub_nc_u16 v51, v87, v0
	v_add_co_ci_u32_e64 v37, s0, s9, v37, s0
	v_add_co_u32 v0, s0, 0x9a0, v36
	v_sub_nc_u16 v39, v86, v39
	v_lshlrev_b32_sdwa v38, v38, v51 dst_sel:DWORD dst_unused:UNUSED_PAD src0_sel:DWORD src1_sel:WORD_0
	v_add_co_ci_u32_e64 v1, s0, 0, v37, s0
	v_add_co_u32 v36, s0, 0x800, v36
	v_and_b32_e32 v118, 0xffff, v39
	v_add_co_ci_u32_e64 v37, s0, 0, v37, s0
	v_add_co_u32 v38, s0, s8, v38
	v_add_co_ci_u32_e64 v39, null, s9, 0, s0
	v_lshlrev_b32_e32 v40, 5, v118
	v_add_co_u32 v56, s0, 0x9a0, v38
	v_add_co_ci_u32_e64 v57, s0, 0, v39, s0
	v_add_co_u32 v40, s0, s8, v40
	v_add_co_ci_u32_e64 v41, null, s9, 0, s0
	v_add_co_u32 v44, s0, 0x800, v38
	v_add_co_ci_u32_e64 v45, s0, 0, v39, s0
	v_add_co_u32 v64, s0, 0x9a0, v40
	v_add_co_ci_u32_e64 v65, s0, 0, v41, s0
	;; [unrolled: 2-line block ×3, first 2 shown]
	s_clause 0x5
	global_load_dwordx4 v[36:39], v[36:37], off offset:416
	global_load_dwordx4 v[40:43], v[0:1], off offset:16
	;; [unrolled: 1-line block ×6, first 2 shown]
	ds_read2_b64 v[68:71], v82 offset0:84 offset1:201
	ds_read2_b64 v[72:75], v83 offset0:40 offset1:157
	;; [unrolled: 1-line block ×4, first 2 shown]
	v_cmp_lt_u32_e64 s0, 38, v50
	ds_read2_b64 v[98:101], v88 offset1:117
	ds_read2_b64 v[102:105], v84 offset0:106 offset1:223
	s_waitcnt vmcnt(0) lgkmcnt(0)
	s_barrier
	buffer_gl0_inv
	v_mul_f64 v[0:1], v[68:69], v[30:31]
	v_mul_f64 v[80:81], v[72:73], v[34:35]
	;; [unrolled: 1-line block ×4, first 2 shown]
	v_fma_f64 v[0:1], v[18:19], v[28:29], -v[0:1]
	v_fma_f64 v[18:19], v[22:23], v[32:33], -v[80:81]
	v_fma_f64 v[28:29], v[68:69], v[28:29], v[30:31]
	v_fma_f64 v[30:31], v[72:73], v[32:33], v[34:35]
	v_mul_f64 v[106:107], v[70:71], v[38:39]
	v_mul_f64 v[108:109], v[74:75], v[42:43]
	;; [unrolled: 1-line block ×12, first 2 shown]
	v_mov_b32_e32 v67, 3
	v_cndmask_b32_e64 v66, 0, 0xea0, s0
	s_mov_b32 s0, s4
	v_lshlrev_b32_sdwa v51, v67, v51 dst_sel:DWORD dst_unused:UNUSED_PAD src0_sel:DWORD src1_sel:WORD_0
	v_fma_f64 v[20:21], v[20:21], v[36:37], -v[106:107]
	v_fma_f64 v[24:25], v[24:25], v[40:41], -v[108:109]
	;; [unrolled: 1-line block ×6, first 2 shown]
	v_fma_f64 v[32:33], v[70:71], v[36:37], v[38:39]
	v_fma_f64 v[34:35], v[74:75], v[40:41], v[42:43]
	;; [unrolled: 1-line block ×4, first 2 shown]
	v_add_f64 v[40:41], v[0:1], v[18:19]
	v_fma_f64 v[22:23], v[78:79], v[60:61], v[22:23]
	v_fma_f64 v[42:43], v[96:97], v[64:65], v[62:63]
	v_lshlrev_b32_e32 v58, 3, v90
	v_mul_u32_u24_e32 v59, 0xea0, v92
	v_add_f64 v[60:61], v[28:29], v[30:31]
	v_add_f64 v[62:63], v[28:29], -v[30:31]
	v_add_f64 v[28:29], v[98:99], v[28:29]
	v_add3_u32 v77, 0, v66, v58
	v_add3_u32 v51, 0, v59, v51
	v_add_f64 v[58:59], v[2:3], v[0:1]
	v_add_f64 v[0:1], v[0:1], -v[18:19]
	v_add_f64 v[66:67], v[4:5], v[20:21]
	v_add_f64 v[44:45], v[20:21], v[24:25]
	;; [unrolled: 1-line block ×6, first 2 shown]
	v_add_f64 v[20:21], v[20:21], -v[24:25]
	v_add_f64 v[64:65], v[32:33], v[34:35]
	v_add_f64 v[10:11], v[10:11], -v[14:15]
	v_add_f64 v[68:69], v[36:37], v[38:39]
	v_fma_f64 v[2:3], v[40:41], -0.5, v[2:3]
	v_add_f64 v[40:41], v[32:33], -v[34:35]
	v_add_f64 v[72:73], v[22:23], v[42:43]
	v_add_f64 v[32:33], v[100:101], v[32:33]
	v_add_f64 v[12:13], v[12:13], -v[16:17]
	v_lshl_add_u32 v76, v118, 3, 0
	v_add_f64 v[28:29], v[28:29], v[30:31]
	v_add_f64 v[18:19], v[58:59], v[18:19]
	v_add_nc_u32_e32 v78, 0x1c00, v76
	v_add_f64 v[24:25], v[66:67], v[24:25]
	v_fma_f64 v[4:5], v[44:45], -0.5, v[4:5]
	v_add_f64 v[44:45], v[36:37], -v[38:39]
	v_fma_f64 v[6:7], v[46:47], -0.5, v[6:7]
	v_add_f64 v[46:47], v[22:23], -v[42:43]
	v_fma_f64 v[8:9], v[56:57], -0.5, v[8:9]
	v_add_f64 v[36:37], v[102:103], v[36:37]
	v_fma_f64 v[56:57], v[60:61], -0.5, v[98:99]
	v_add_f64 v[22:23], v[104:105], v[22:23]
	v_fma_f64 v[58:59], v[64:65], -0.5, v[100:101]
	v_fma_f64 v[60:61], v[68:69], -0.5, v[102:103]
	v_fma_f64 v[64:65], v[62:63], s[4:5], v[2:3]
	v_fma_f64 v[2:3], v[62:63], s[0:1], v[2:3]
	v_fma_f64 v[62:63], v[72:73], -0.5, v[104:105]
	v_add_f64 v[14:15], v[70:71], v[14:15]
	v_add_f64 v[16:17], v[74:75], v[16:17]
	;; [unrolled: 1-line block ×3, first 2 shown]
	ds_write2_b64 v88, v[18:19], v[64:65] offset1:156
	ds_write_b64 v88, v[2:3] offset:2496
	v_fma_f64 v[66:67], v[40:41], s[4:5], v[4:5]
	v_fma_f64 v[4:5], v[40:41], s[0:1], v[4:5]
	;; [unrolled: 1-line block ×6, first 2 shown]
	v_add_f64 v[32:33], v[36:37], v[38:39]
	v_fma_f64 v[34:35], v[0:1], s[0:1], v[56:57]
	v_fma_f64 v[36:37], v[0:1], s[4:5], v[56:57]
	v_add_f64 v[38:39], v[22:23], v[42:43]
	v_fma_f64 v[42:43], v[20:21], s[0:1], v[58:59]
	v_fma_f64 v[46:47], v[20:21], s[4:5], v[58:59]
	;; [unrolled: 1-line block ×6, first 2 shown]
	ds_write2_b64 v77, v[24:25], v[66:67] offset1:156
	ds_write_b64 v77, v[4:5] offset:2496
	ds_write2_b64 v51, v[14:15], v[40:41] offset1:156
	ds_write_b64 v51, v[6:7] offset:2496
	ds_write2_b64 v78, v[16:17], v[44:45] offset0:40 offset1:196
	ds_write_b64 v76, v[8:9] offset:9984
	s_waitcnt lgkmcnt(0)
	s_barrier
	buffer_gl0_inv
	ds_read2_b64 v[4:7], v88 offset1:117
	ds_read2_b64 v[16:19], v82 offset0:84 offset1:201
	ds_read2_b64 v[20:23], v83 offset0:40 offset1:157
	;; [unrolled: 1-line block ×5, first 2 shown]
	s_waitcnt lgkmcnt(0)
	s_barrier
	buffer_gl0_inv
	ds_write2_b64 v88, v[28:29], v[34:35] offset1:156
	ds_write_b64 v88, v[36:37] offset:2496
	ds_write2_b64 v77, v[30:31], v[42:43] offset1:156
	ds_write_b64 v77, v[46:47] offset:2496
	;; [unrolled: 2-line block ×3, first 2 shown]
	ds_write2_b64 v78, v[38:39], v[60:61] offset0:40 offset1:196
	ds_write_b64 v76, v[62:63] offset:9984
	s_waitcnt lgkmcnt(0)
	s_barrier
	buffer_gl0_inv
	s_and_saveexec_b32 s6, vcc_lo
	s_cbranch_execz .LBB0_21
; %bb.20:
	v_mov_b32_e32 v56, v52
	v_add_nc_u32_e32 v65, 0x1400, v88
	v_add_nc_u32_e32 v69, 0xc00, v88
	;; [unrolled: 1-line block ×4, first 2 shown]
	v_lshlrev_b64 v[24:25], 4, v[55:56]
	v_mov_b32_e32 v55, v52
	v_add_nc_u32_e32 v81, 0x400, v88
	v_mul_hi_u32 v85, 0x46046047, v91
	v_mov_b32_e32 v51, v52
	v_add_co_u32 v28, vcc_lo, s8, v24
	v_add_co_ci_u32_e32 v29, vcc_lo, s9, v25, vcc_lo
	v_lshlrev_b64 v[24:25], 4, v[54:55]
	v_add_co_u32 v32, vcc_lo, 0x1d20, v28
	v_add_co_ci_u32_e32 v33, vcc_lo, 0, v29, vcc_lo
	v_add_co_u32 v28, vcc_lo, 0x1800, v28
	v_add_co_ci_u32_e32 v29, vcc_lo, 0, v29, vcc_lo
	;; [unrolled: 2-line block ×3, first 2 shown]
	v_mov_b32_e32 v54, v52
	v_add_co_u32 v44, vcc_lo, 0x1d20, v24
	v_add_co_ci_u32_e32 v45, vcc_lo, 0, v25, vcc_lo
	v_add_co_u32 v40, vcc_lo, 0x1800, v24
	v_add_co_ci_u32_e32 v41, vcc_lo, 0, v25, vcc_lo
	v_lshlrev_b64 v[24:25], 4, v[53:54]
	v_add_co_u32 v36, vcc_lo, 0x1d20, v26
	v_add_co_ci_u32_e32 v37, vcc_lo, 0, v27, vcc_lo
	v_add_co_u32 v26, vcc_lo, 0x1800, v26
	v_add_co_ci_u32_e32 v27, vcc_lo, 0, v27, vcc_lo
	;; [unrolled: 2-line block ×3, first 2 shown]
	s_clause 0x1
	global_load_dwordx4 v[28:31], v[28:29], off offset:1312
	global_load_dwordx4 v[32:35], v[32:33], off offset:16
	v_add_co_u32 v53, vcc_lo, 0x1800, v42
	v_add_co_ci_u32_e32 v54, vcc_lo, 0, v43, vcc_lo
	v_add_co_u32 v57, vcc_lo, 0x1d20, v42
	s_clause 0x1
	global_load_dwordx4 v[24:27], v[26:27], off offset:1312
	global_load_dwordx4 v[36:39], v[36:37], off offset:16
	v_add_co_ci_u32_e32 v58, vcc_lo, 0, v43, vcc_lo
	s_clause 0x3
	global_load_dwordx4 v[40:43], v[40:41], off offset:1312
	global_load_dwordx4 v[44:47], v[44:45], off offset:16
	;; [unrolled: 1-line block ×4, first 2 shown]
	ds_read2_b64 v[61:64], v88 offset1:117
	ds_read2_b64 v[65:68], v65 offset0:62 offset1:179
	ds_read2_b64 v[69:72], v69 offset0:84 offset1:201
	;; [unrolled: 1-line block ×4, first 2 shown]
	v_mul_hi_u32 v88, 0x46046047, v89
	ds_read2_b64 v[81:84], v81 offset0:106 offset1:223
	v_lshlrev_b64 v[50:51], 4, v[50:51]
	v_add_co_u32 v111, vcc_lo, s2, v48
	v_add_co_ci_u32_e32 v112, vcc_lo, s3, v49, vcc_lo
	v_lshrrev_b32_e32 v85, 5, v85
	v_add_co_u32 v48, vcc_lo, v111, v50
	v_lshrrev_b32_e32 v113, 5, v88
	v_add_co_ci_u32_e32 v49, vcc_lo, v112, v51, vcc_lo
	v_mad_u32_u24 v51, 0x3a8, v85, v87
	v_add_co_u32 v87, vcc_lo, 0x1800, v48
	v_add_co_ci_u32_e32 v88, vcc_lo, 0, v49, vcc_lo
	v_lshlrev_b64 v[109:110], 4, v[51:52]
	v_mad_u32_u24 v51, 0x3a8, v113, v86
	v_add_co_u32 v105, vcc_lo, 0x3800, v48
	v_add_co_ci_u32_e32 v106, vcc_lo, 0, v49, vcc_lo
	v_add_co_u32 v107, vcc_lo, 0x2000, v48
	v_add_co_ci_u32_e32 v108, vcc_lo, 0, v49, vcc_lo
	s_waitcnt vmcnt(7) lgkmcnt(4)
	v_mul_f64 v[93:94], v[67:68], v[30:31]
	s_waitcnt vmcnt(6) lgkmcnt(1)
	v_mul_f64 v[95:96], v[79:80], v[34:35]
	v_mul_f64 v[30:31], v[10:11], v[30:31]
	;; [unrolled: 1-line block ×3, first 2 shown]
	s_waitcnt vmcnt(5)
	v_mul_f64 v[89:90], v[69:70], v[26:27]
	s_waitcnt vmcnt(4)
	v_mul_f64 v[91:92], v[73:74], v[38:39]
	v_mul_f64 v[26:27], v[16:17], v[26:27]
	;; [unrolled: 1-line block ×3, first 2 shown]
	s_waitcnt vmcnt(3)
	v_mul_f64 v[97:98], v[8:9], v[42:43]
	s_waitcnt vmcnt(2)
	v_mul_f64 v[99:100], v[12:13], v[46:47]
	;; [unrolled: 2-line block ×4, first 2 shown]
	v_mul_f64 v[55:56], v[18:19], v[55:56]
	v_mul_f64 v[59:60], v[22:23], v[59:60]
	;; [unrolled: 1-line block ×4, first 2 shown]
	v_fma_f64 v[10:11], v[10:11], v[28:29], -v[93:94]
	v_fma_f64 v[14:15], v[14:15], v[32:33], -v[95:96]
	v_fma_f64 v[28:29], v[28:29], v[67:68], v[30:31]
	v_fma_f64 v[30:31], v[32:33], v[79:80], v[34:35]
	v_fma_f64 v[16:17], v[16:17], v[24:25], -v[89:90]
	v_fma_f64 v[20:21], v[20:21], v[36:37], -v[91:92]
	v_fma_f64 v[24:25], v[24:25], v[69:70], v[26:27]
	v_fma_f64 v[26:27], v[36:37], v[73:74], v[38:39]
	;; [unrolled: 1-line block ×4, first 2 shown]
	v_fma_f64 v[18:19], v[18:19], v[53:54], -v[101:102]
	v_fma_f64 v[22:23], v[22:23], v[57:58], -v[103:104]
	v_fma_f64 v[36:37], v[53:54], v[71:72], v[55:56]
	v_fma_f64 v[38:39], v[57:58], v[75:76], v[59:60]
	v_fma_f64 v[8:9], v[8:9], v[40:41], -v[42:43]
	v_fma_f64 v[12:13], v[12:13], v[44:45], -v[46:47]
	v_add_co_u32 v53, vcc_lo, 0x4000, v48
	v_add_co_ci_u32_e32 v54, vcc_lo, 0, v49, vcc_lo
	v_add_f64 v[59:60], v[10:11], v[14:15]
	v_add_f64 v[73:74], v[10:11], -v[14:15]
	v_add_f64 v[57:58], v[28:29], v[30:31]
	v_add_f64 v[10:11], v[2:3], v[10:11]
	s_waitcnt lgkmcnt(0)
	v_add_f64 v[75:76], v[28:29], v[83:84]
	v_add_f64 v[28:29], v[28:29], -v[30:31]
	v_add_co_u32 v55, vcc_lo, v111, v109
	v_add_f64 v[46:47], v[16:17], v[20:21]
	v_add_f64 v[42:43], v[24:25], v[26:27]
	v_add_f64 v[44:45], v[16:17], -v[20:21]
	v_add_f64 v[65:66], v[32:33], v[34:35]
	v_add_f64 v[71:72], v[24:25], v[61:62]
	;; [unrolled: 1-line block ×5, first 2 shown]
	v_add_f64 v[89:90], v[18:19], -v[22:23]
	v_add_f64 v[77:78], v[8:9], v[12:13]
	v_add_f64 v[79:80], v[8:9], -v[12:13]
	v_add_f64 v[8:9], v[0:1], v[8:9]
	v_add_f64 v[91:92], v[36:37], v[63:64]
	;; [unrolled: 1-line block ×3, first 2 shown]
	v_add_f64 v[24:25], v[24:25], -v[26:27]
	v_add_f64 v[36:37], v[36:37], -v[38:39]
	v_add_f64 v[85:86], v[32:33], v[81:82]
	v_add_f64 v[32:33], v[32:33], -v[34:35]
	v_fma_f64 v[57:58], v[57:58], -0.5, v[83:84]
	v_fma_f64 v[59:60], v[59:60], -0.5, v[2:3]
	v_add_co_ci_u32_e32 v56, vcc_lo, v112, v110, vcc_lo
	v_fma_f64 v[46:47], v[46:47], -0.5, v[4:5]
	v_fma_f64 v[42:43], v[42:43], -0.5, v[61:62]
	v_lshlrev_b64 v[40:41], 4, v[51:52]
	v_fma_f64 v[61:62], v[65:66], -0.5, v[81:82]
	v_add_co_u32 v50, vcc_lo, 0x1800, v55
	v_fma_f64 v[65:66], v[69:70], -0.5, v[6:7]
	v_fma_f64 v[63:64], v[67:68], -0.5, v[63:64]
	v_add_f64 v[2:3], v[71:72], v[26:27]
	v_fma_f64 v[69:70], v[77:78], -0.5, v[0:1]
	v_add_f64 v[0:1], v[16:17], v[20:21]
	v_add_co_ci_u32_e32 v51, vcc_lo, 0, v56, vcc_lo
	v_add_f64 v[4:5], v[10:11], v[14:15]
	v_add_f64 v[8:9], v[8:9], v[12:13]
	;; [unrolled: 1-line block ×4, first 2 shown]
	v_add_co_u32 v67, vcc_lo, v111, v40
	v_add_co_ci_u32_e32 v68, vcc_lo, v112, v41, vcc_lo
	v_add_f64 v[10:11], v[34:35], v[85:86]
	v_fma_f64 v[20:21], v[24:25], s[4:5], v[46:47]
	v_fma_f64 v[22:23], v[44:45], s[0:1], v[42:43]
	v_fma_f64 v[18:19], v[44:45], s[4:5], v[42:43]
	v_fma_f64 v[16:17], v[24:25], s[0:1], v[46:47]
	v_fma_f64 v[46:47], v[79:80], s[0:1], v[61:62]
	v_fma_f64 v[34:35], v[79:80], s[4:5], v[61:62]
	v_fma_f64 v[40:41], v[36:37], s[4:5], v[65:66]
	v_fma_f64 v[42:43], v[89:90], s[0:1], v[63:64]
	v_fma_f64 v[38:39], v[89:90], s[4:5], v[63:64]
	v_fma_f64 v[36:37], v[36:37], s[0:1], v[65:66]
	v_fma_f64 v[44:45], v[32:33], s[4:5], v[69:70]
	v_fma_f64 v[32:33], v[32:33], s[0:1], v[69:70]
	v_add_f64 v[6:7], v[30:31], v[75:76]
	v_fma_f64 v[30:31], v[73:74], s[0:1], v[57:58]
	v_fma_f64 v[24:25], v[28:29], s[0:1], v[59:60]
	;; [unrolled: 1-line block ×4, first 2 shown]
	v_add_co_u32 v57, vcc_lo, 0x3800, v55
	v_add_co_ci_u32_e32 v58, vcc_lo, 0, v56, vcc_lo
	v_add_co_u32 v59, vcc_lo, 0x1800, v67
	v_add_co_ci_u32_e32 v60, vcc_lo, 0, v68, vcc_lo
	;; [unrolled: 2-line block ×3, first 2 shown]
	global_store_dwordx4 v[48:49], v[0:3], off
	global_store_dwordx4 v[48:49], v[12:15], off offset:1872
	global_store_dwordx4 v[87:88], v[20:23], off offset:1344
	;; [unrolled: 1-line block ×5, first 2 shown]
	global_store_dwordx4 v[55:56], v[8:11], off
	global_store_dwordx4 v[50:51], v[44:47], off offset:1344
	global_store_dwordx4 v[57:58], v[32:35], off offset:640
	global_store_dwordx4 v[67:68], v[4:7], off
	global_store_dwordx4 v[59:60], v[28:31], off offset:1344
	global_store_dwordx4 v[61:62], v[24:27], off offset:640
.LBB0_21:
	s_endpgm
	.section	.rodata,"a",@progbits
	.p2align	6, 0x0
	.amdhsa_kernel fft_rtc_fwd_len1404_factors_2_2_3_13_3_3_wgs_117_tpt_117_halfLds_dp_ip_CI_unitstride_sbrr_dirReg
		.amdhsa_group_segment_fixed_size 0
		.amdhsa_private_segment_fixed_size 0
		.amdhsa_kernarg_size 88
		.amdhsa_user_sgpr_count 6
		.amdhsa_user_sgpr_private_segment_buffer 1
		.amdhsa_user_sgpr_dispatch_ptr 0
		.amdhsa_user_sgpr_queue_ptr 0
		.amdhsa_user_sgpr_kernarg_segment_ptr 1
		.amdhsa_user_sgpr_dispatch_id 0
		.amdhsa_user_sgpr_flat_scratch_init 0
		.amdhsa_user_sgpr_private_segment_size 0
		.amdhsa_wavefront_size32 1
		.amdhsa_uses_dynamic_stack 0
		.amdhsa_system_sgpr_private_segment_wavefront_offset 0
		.amdhsa_system_sgpr_workgroup_id_x 1
		.amdhsa_system_sgpr_workgroup_id_y 0
		.amdhsa_system_sgpr_workgroup_id_z 0
		.amdhsa_system_sgpr_workgroup_info 0
		.amdhsa_system_vgpr_workitem_id 0
		.amdhsa_next_free_vgpr 178
		.amdhsa_next_free_sgpr 42
		.amdhsa_reserve_vcc 1
		.amdhsa_reserve_flat_scratch 0
		.amdhsa_float_round_mode_32 0
		.amdhsa_float_round_mode_16_64 0
		.amdhsa_float_denorm_mode_32 3
		.amdhsa_float_denorm_mode_16_64 3
		.amdhsa_dx10_clamp 1
		.amdhsa_ieee_mode 1
		.amdhsa_fp16_overflow 0
		.amdhsa_workgroup_processor_mode 1
		.amdhsa_memory_ordered 1
		.amdhsa_forward_progress 0
		.amdhsa_shared_vgpr_count 0
		.amdhsa_exception_fp_ieee_invalid_op 0
		.amdhsa_exception_fp_denorm_src 0
		.amdhsa_exception_fp_ieee_div_zero 0
		.amdhsa_exception_fp_ieee_overflow 0
		.amdhsa_exception_fp_ieee_underflow 0
		.amdhsa_exception_fp_ieee_inexact 0
		.amdhsa_exception_int_div_zero 0
	.end_amdhsa_kernel
	.text
.Lfunc_end0:
	.size	fft_rtc_fwd_len1404_factors_2_2_3_13_3_3_wgs_117_tpt_117_halfLds_dp_ip_CI_unitstride_sbrr_dirReg, .Lfunc_end0-fft_rtc_fwd_len1404_factors_2_2_3_13_3_3_wgs_117_tpt_117_halfLds_dp_ip_CI_unitstride_sbrr_dirReg
                                        ; -- End function
	.section	.AMDGPU.csdata,"",@progbits
; Kernel info:
; codeLenInByte = 12020
; NumSgprs: 44
; NumVgprs: 178
; ScratchSize: 0
; MemoryBound: 1
; FloatMode: 240
; IeeeMode: 1
; LDSByteSize: 0 bytes/workgroup (compile time only)
; SGPRBlocks: 5
; VGPRBlocks: 22
; NumSGPRsForWavesPerEU: 44
; NumVGPRsForWavesPerEU: 178
; Occupancy: 5
; WaveLimiterHint : 1
; COMPUTE_PGM_RSRC2:SCRATCH_EN: 0
; COMPUTE_PGM_RSRC2:USER_SGPR: 6
; COMPUTE_PGM_RSRC2:TRAP_HANDLER: 0
; COMPUTE_PGM_RSRC2:TGID_X_EN: 1
; COMPUTE_PGM_RSRC2:TGID_Y_EN: 0
; COMPUTE_PGM_RSRC2:TGID_Z_EN: 0
; COMPUTE_PGM_RSRC2:TIDIG_COMP_CNT: 0
	.text
	.p2alignl 6, 3214868480
	.fill 48, 4, 3214868480
	.type	__hip_cuid_411182f44e1d4291,@object ; @__hip_cuid_411182f44e1d4291
	.section	.bss,"aw",@nobits
	.globl	__hip_cuid_411182f44e1d4291
__hip_cuid_411182f44e1d4291:
	.byte	0                               ; 0x0
	.size	__hip_cuid_411182f44e1d4291, 1

	.ident	"AMD clang version 19.0.0git (https://github.com/RadeonOpenCompute/llvm-project roc-6.4.0 25133 c7fe45cf4b819c5991fe208aaa96edf142730f1d)"
	.section	".note.GNU-stack","",@progbits
	.addrsig
	.addrsig_sym __hip_cuid_411182f44e1d4291
	.amdgpu_metadata
---
amdhsa.kernels:
  - .args:
      - .actual_access:  read_only
        .address_space:  global
        .offset:         0
        .size:           8
        .value_kind:     global_buffer
      - .offset:         8
        .size:           8
        .value_kind:     by_value
      - .actual_access:  read_only
        .address_space:  global
        .offset:         16
        .size:           8
        .value_kind:     global_buffer
      - .actual_access:  read_only
        .address_space:  global
        .offset:         24
        .size:           8
        .value_kind:     global_buffer
      - .offset:         32
        .size:           8
        .value_kind:     by_value
      - .actual_access:  read_only
        .address_space:  global
        .offset:         40
        .size:           8
        .value_kind:     global_buffer
      - .actual_access:  read_only
        .address_space:  global
        .offset:         48
        .size:           8
        .value_kind:     global_buffer
      - .offset:         56
        .size:           4
        .value_kind:     by_value
      - .actual_access:  read_only
        .address_space:  global
        .offset:         64
        .size:           8
        .value_kind:     global_buffer
      - .actual_access:  read_only
        .address_space:  global
        .offset:         72
        .size:           8
        .value_kind:     global_buffer
      - .address_space:  global
        .offset:         80
        .size:           8
        .value_kind:     global_buffer
    .group_segment_fixed_size: 0
    .kernarg_segment_align: 8
    .kernarg_segment_size: 88
    .language:       OpenCL C
    .language_version:
      - 2
      - 0
    .max_flat_workgroup_size: 117
    .name:           fft_rtc_fwd_len1404_factors_2_2_3_13_3_3_wgs_117_tpt_117_halfLds_dp_ip_CI_unitstride_sbrr_dirReg
    .private_segment_fixed_size: 0
    .sgpr_count:     44
    .sgpr_spill_count: 0
    .symbol:         fft_rtc_fwd_len1404_factors_2_2_3_13_3_3_wgs_117_tpt_117_halfLds_dp_ip_CI_unitstride_sbrr_dirReg.kd
    .uniform_work_group_size: 1
    .uses_dynamic_stack: false
    .vgpr_count:     178
    .vgpr_spill_count: 0
    .wavefront_size: 32
    .workgroup_processor_mode: 1
amdhsa.target:   amdgcn-amd-amdhsa--gfx1030
amdhsa.version:
  - 1
  - 2
...

	.end_amdgpu_metadata
